;; amdgpu-corpus repo=llvm/llvm-project kind=harvested arch=n/a opt=n/a
// RUN: not llvm-mc -triple=amdgcn -mcpu=gfx800 %s -filetype=null 2>&1 | FileCheck %s
// RUN: not llvm-mc -triple=amdgcn -mcpu=gfx900 %s -filetype=null 2>&1 | FileCheck %s
// RUN: not llvm-mc -triple=amdgcn -mcpu=gfx906 %s -filetype=null 2>&1 | FileCheck %s --check-prefix=GFX906-GFX908
// RUN: not llvm-mc -triple=amdgcn -mcpu=gfx908 %s -filetype=null 2>&1 | FileCheck %s --check-prefix=GFX906-GFX908
// RUN: not llvm-mc -triple=amdgcn -mcpu=gfx1013 %s -filetype=null 2>&1 | FileCheck %s --check-prefix=GFX1013

//
// Test unsupported GPUs.
//

// CHECK: :[[@LINE+1]]:{{[0-9]+}}: error: instruction not supported on this GPU
v_fmac_f32 v0, v1, v2
// CHECK: :[[@LINE+1]]:{{[0-9]+}}: error: instruction not supported on this GPU
v_xnor_b32 v0, v1, v2
// CHECK: :[[@LINE+2]]:{{[0-9]+}}: error: instruction not supported on this GPU
// GFX1013: :[[@LINE+1]]:{{[0-9]+}}: error: instruction not supported on this GPU
v_dot2_f32_f16 v0, v1, v2, v3
// CHECK: :[[@LINE+2]]:{{[0-9]+}}: error: instruction not supported on this GPU
// GFX1013: :[[@LINE+1]]:{{[0-9]+}}: error: instruction not supported on this GPU
v_dot2_i32_i16 v0, v1, v2, v3
// CHECK: :[[@LINE+2]]:{{[0-9]+}}: error: instruction not supported on this GPU
// GFX1013: :[[@LINE+1]]:{{[0-9]+}}: error: instruction not supported on this GPU
v_dot2_u32_u16 v0, v1, v2, v3
// CHECK: :[[@LINE+2]]:{{[0-9]+}}: error: instruction not supported on this GPU
// GFX1013: :[[@LINE+1]]:{{[0-9]+}}: error: instruction not supported on this GPU
v_dot4_i32_i8 v0, v1, v2, v3
// CHECK: :[[@LINE+2]]:{{[0-9]+}}: error: instruction not supported on this GPU
// GFX1013: :[[@LINE+1]]:{{[0-9]+}}: error: instruction not supported on this GPU
v_dot4_u32_u8 v0, v1, v2, v3
// CHECK: :[[@LINE+2]]:{{[0-9]+}}: error: instruction not supported on this GPU
// GFX1013: :[[@LINE+1]]:{{[0-9]+}}: error: instruction not supported on this GPU
v_dot8_i32_i4 v0, v1, v2, v3
// CHECK: :[[@LINE+2]]:{{[0-9]+}}: error: instruction not supported on this GPU
// GFX1013: :[[@LINE+1]]:{{[0-9]+}}: error: instruction not supported on this GPU
v_dot8_u32_u4 v0, v1, v2, v3

//
// Test invalid operands.
//

// GFX906-GFX908: :[[@LINE+1]]:{{[0-9]+}}: error: invalid operand for instruction
v_dot2_f32_f16 v0, v1, v2, v3 op_sel
// GFX906-GFX908: :[[@LINE+1]]:{{[0-9]+}}: error: expected a left square bracket
v_dot2_f32_f16 v0, v1, v2, v3 op_sel:
// GFX906-GFX908: :[[@LINE+1]]:{{[0-9]+}}: error: unknown token in expression
v_dot2_f32_f16 v0, v1, v2, v3 op_sel:[
// GFX906-GFX908: :[[@LINE+1]]:{{[0-9]+}}: error: expected a left square bracket
v_dot2_f32_f16 v0, v1, v2, v3 op_sel:]
// GFX906-GFX908: :[[@LINE+1]]:{{[0-9]+}}: error: unknown token in expression
v_dot2_f32_f16 v0, v1, v2, v3 op_sel:[]
// GFX906-GFX908: :[[@LINE+1]]:{{[0-9]+}}: error: unknown token in expression
v_dot2_f32_f16 v0, v1, v2, v3 op_sel:[,]
// GFX906-GFX908: :[[@LINE+1]]:{{[0-9]+}}: error: unknown token in expression
v_dot2_f32_f16 v0, v1, v2, v3 op_sel:[,0]
// GFX906-GFX908: :[[@LINE+1]]:{{[0-9]+}}: error: invalid op_sel value.
v_dot2_f32_f16 v0, v1, v2, v3 op_sel:[0,2]
// GFX906-GFX908: :[[@LINE+1]]:{{[0-9]+}}: error: invalid op_sel value.
v_dot2_f32_f16 v0, v1, v2, v3 op_sel:[2,0]
	;; [unrolled: 2-line block ×3, first 2 shown]
// GFX906-GFX908: :[[@LINE+1]]:{{[0-9]+}}: error: invalid op_sel value.
v_dot2_f32_f16 v0, v1, v2, v3 op_sel:[0,-1]
// GFX906-GFX908: :[[@LINE+1]]:{{[0-9]+}}: error: invalid op_sel value.
v_dot2_f32_f16 v0, v1, v2, v3 op_sel:[-1,0]
// GFX906-GFX908: :[[@LINE+1]]:{{[0-9]+}}: error: invalid op_sel value.
v_dot2_f32_f16 v0, v1, v2, v3 op_sel:[-1,-1]
// GFX906-GFX908: :[[@LINE+1]]:{{[0-9]+}}: error: expected a closing square bracket
v_dot2_f32_f16 v0, v1, v2, v3 op_sel:[0,0,0,0,0]
// GFX906-GFX908: :[[@LINE+1]]:{{[0-9]+}}: error: invalid operand for instruction
v_dot2_f32_f16 v0, v1, v2, v3 op_sel_hi
// GFX906-GFX908: :[[@LINE+1]]:{{[0-9]+}}: error: expected a left square bracket
v_dot2_f32_f16 v0, v1, v2, v3 op_sel_hi:
// GFX906-GFX908: :[[@LINE+1]]:{{[0-9]+}}: error: unknown token in expression
v_dot2_f32_f16 v0, v1, v2, v3 op_sel_hi:[
// GFX906-GFX908: :[[@LINE+1]]:{{[0-9]+}}: error: expected a left square bracket
v_dot2_f32_f16 v0, v1, v2, v3 op_sel_hi:]
// GFX906-GFX908: :[[@LINE+1]]:{{[0-9]+}}: error: unknown token in expression
v_dot2_f32_f16 v0, v1, v2, v3 op_sel_hi:[]
// GFX906-GFX908: :[[@LINE+1]]:{{[0-9]+}}: error: unknown token in expression
v_dot2_f32_f16 v0, v1, v2, v3 op_sel_hi:[,]
// GFX906-GFX908: :[[@LINE+1]]:{{[0-9]+}}: error: unknown token in expression
v_dot2_f32_f16 v0, v1, v2, v3 op_sel_hi:[,0]
// GFX906-GFX908: :[[@LINE+1]]:{{[0-9]+}}: error: invalid op_sel_hi value.
v_dot2_f32_f16 v0, v1, v2, v3 op_sel_hi:[0,2]
// GFX906-GFX908: :[[@LINE+1]]:{{[0-9]+}}: error: invalid op_sel_hi value.
v_dot2_f32_f16 v0, v1, v2, v3 op_sel_hi:[2,0]
	;; [unrolled: 2-line block ×3, first 2 shown]
// GFX906-GFX908: :[[@LINE+1]]:{{[0-9]+}}: error: invalid op_sel_hi value.
v_dot2_f32_f16 v0, v1, v2, v3 op_sel_hi:[0,-1]
// GFX906-GFX908: :[[@LINE+1]]:{{[0-9]+}}: error: invalid op_sel_hi value.
v_dot2_f32_f16 v0, v1, v2, v3 op_sel_hi:[-1,0]
// GFX906-GFX908: :[[@LINE+1]]:{{[0-9]+}}: error: invalid op_sel_hi value.
v_dot2_f32_f16 v0, v1, v2, v3 op_sel_hi:[-1,-1]
// GFX906-GFX908: :[[@LINE+1]]:{{[0-9]+}}: error: expected a closing square bracket
v_dot2_f32_f16 v0, v1, v2, v3 op_sel_hi:[0,0,0,0,0]
// GFX906-GFX908: :[[@LINE+1]]:{{[0-9]+}}: error: invalid operand for instruction
v_dot2_f32_f16 v0, v1, v2, v3 neg_lo
// GFX906-GFX908: :[[@LINE+1]]:{{[0-9]+}}: error: expected a left square bracket
v_dot2_f32_f16 v0, v1, v2, v3 neg_lo:
// GFX906-GFX908: :[[@LINE+1]]:{{[0-9]+}}: error: unknown token in expression
v_dot2_f32_f16 v0, v1, v2, v3 neg_lo:[
// GFX906-GFX908: :[[@LINE+1]]:{{[0-9]+}}: error: expected a left square bracket
v_dot2_f32_f16 v0, v1, v2, v3 neg_lo:]
// GFX906-GFX908: :[[@LINE+1]]:{{[0-9]+}}: error: unknown token in expression
v_dot2_f32_f16 v0, v1, v2, v3 neg_lo:[]
// GFX906-GFX908: :[[@LINE+1]]:{{[0-9]+}}: error: unknown token in expression
v_dot2_f32_f16 v0, v1, v2, v3 neg_lo:[,]
// GFX906-GFX908: :[[@LINE+1]]:{{[0-9]+}}: error: unknown token in expression
v_dot2_f32_f16 v0, v1, v2, v3 neg_lo:[,0]
// GFX906-GFX908: :[[@LINE+1]]:{{[0-9]+}}: error: invalid neg_lo value.
v_dot2_f32_f16 v0, v1, v2, v3 neg_lo:[0,2]
// GFX906-GFX908: :[[@LINE+1]]:{{[0-9]+}}: error: invalid neg_lo value.
v_dot2_f32_f16 v0, v1, v2, v3 neg_lo:[2,0]
// GFX906-GFX908: :[[@LINE+1]]:{{[0-9]+}}: error: invalid neg_lo value.
v_dot2_f32_f16 v0, v1, v2, v3 neg_lo:[2,2]
// GFX906-GFX908: :[[@LINE+1]]:{{[0-9]+}}: error: invalid neg_lo value.
v_dot2_f32_f16 v0, v1, v2, v3 neg_lo:[0,-1]
// GFX906-GFX908: :[[@LINE+1]]:{{[0-9]+}}: error: invalid neg_lo value.
v_dot2_f32_f16 v0, v1, v2, v3 neg_lo:[-1,0]
// GFX906-GFX908: :[[@LINE+1]]:{{[0-9]+}}: error: invalid neg_lo value.
v_dot2_f32_f16 v0, v1, v2, v3 neg_lo:[-1,-1]
// GFX906-GFX908: :[[@LINE+1]]:{{[0-9]+}}: error: expected a closing square bracket
v_dot2_f32_f16 v0, v1, v2, v3 neg_lo:[0,0,0,0,0]
// GFX906-GFX908: :[[@LINE+1]]:{{[0-9]+}}: error: invalid operand for instruction
v_dot2_f32_f16 v0, v1, v2, v3 neg_hi
// GFX906-GFX908: :[[@LINE+1]]:{{[0-9]+}}: error: expected a left square bracket
v_dot2_f32_f16 v0, v1, v2, v3 neg_hi:
// GFX906-GFX908: :[[@LINE+1]]:{{[0-9]+}}: error: unknown token in expression
v_dot2_f32_f16 v0, v1, v2, v3 neg_hi:[
// GFX906-GFX908: :[[@LINE+1]]:{{[0-9]+}}: error: expected a left square bracket
v_dot2_f32_f16 v0, v1, v2, v3 neg_hi:]
// GFX906-GFX908: :[[@LINE+1]]:{{[0-9]+}}: error: unknown token in expression
v_dot2_f32_f16 v0, v1, v2, v3 neg_hi:[]
// GFX906-GFX908: :[[@LINE+1]]:{{[0-9]+}}: error: unknown token in expression
v_dot2_f32_f16 v0, v1, v2, v3 neg_hi:[,]
// GFX906-GFX908: :[[@LINE+1]]:{{[0-9]+}}: error: unknown token in expression
v_dot2_f32_f16 v0, v1, v2, v3 neg_hi:[,0]
// GFX906-GFX908: :[[@LINE+1]]:{{[0-9]+}}: error: invalid neg_hi value.
v_dot2_f32_f16 v0, v1, v2, v3 neg_hi:[0,2]
// GFX906-GFX908: :[[@LINE+1]]:{{[0-9]+}}: error: invalid neg_hi value.
v_dot2_f32_f16 v0, v1, v2, v3 neg_hi:[2,0]
	;; [unrolled: 2-line block ×3, first 2 shown]
// GFX906-GFX908: :[[@LINE+1]]:{{[0-9]+}}: error: invalid neg_hi value.
v_dot2_f32_f16 v0, v1, v2, v3 neg_hi:[0,-1]
// GFX906-GFX908: :[[@LINE+1]]:{{[0-9]+}}: error: invalid neg_hi value.
v_dot2_f32_f16 v0, v1, v2, v3 neg_hi:[-1,0]
// GFX906-GFX908: :[[@LINE+1]]:{{[0-9]+}}: error: invalid neg_hi value.
v_dot2_f32_f16 v0, v1, v2, v3 neg_hi:[-1,-1]
// GFX906-GFX908: :[[@LINE+1]]:{{[0-9]+}}: error: expected a closing square bracket
v_dot2_f32_f16 v0, v1, v2, v3 neg_hi:[0,0,0,0,0]
// GFX906-GFX908: :[[@LINE+1]]:{{[0-9]+}}: error: invalid operand for instruction
v_dot2_i32_i16 v0, v1, v2, v3 op_sel
// GFX906-GFX908: :[[@LINE+1]]:{{[0-9]+}}: error: expected a left square bracket
v_dot2_i32_i16 v0, v1, v2, v3 op_sel:
// GFX906-GFX908: :[[@LINE+1]]:{{[0-9]+}}: error: unknown token in expression
v_dot2_i32_i16 v0, v1, v2, v3 op_sel:[
// GFX906-GFX908: :[[@LINE+1]]:{{[0-9]+}}: error: expected a left square bracket
v_dot2_i32_i16 v0, v1, v2, v3 op_sel:]
// GFX906-GFX908: :[[@LINE+1]]:{{[0-9]+}}: error: unknown token in expression
v_dot2_i32_i16 v0, v1, v2, v3 op_sel:[]
// GFX906-GFX908: :[[@LINE+1]]:{{[0-9]+}}: error: unknown token in expression
v_dot2_i32_i16 v0, v1, v2, v3 op_sel:[,]
// GFX906-GFX908: :[[@LINE+1]]:{{[0-9]+}}: error: unknown token in expression
v_dot2_i32_i16 v0, v1, v2, v3 op_sel:[,0]
// GFX906-GFX908: :[[@LINE+1]]:{{[0-9]+}}: error: invalid op_sel value.
v_dot2_i32_i16 v0, v1, v2, v3 op_sel:[0,2]
// GFX906-GFX908: :[[@LINE+1]]:{{[0-9]+}}: error: invalid op_sel value.
v_dot2_i32_i16 v0, v1, v2, v3 op_sel:[2,0]
	;; [unrolled: 2-line block ×3, first 2 shown]
// GFX906-GFX908: :[[@LINE+1]]:{{[0-9]+}}: error: invalid op_sel value.
v_dot2_i32_i16 v0, v1, v2, v3 op_sel:[0,-1]
// GFX906-GFX908: :[[@LINE+1]]:{{[0-9]+}}: error: invalid op_sel value.
v_dot2_i32_i16 v0, v1, v2, v3 op_sel:[-1,0]
// GFX906-GFX908: :[[@LINE+1]]:{{[0-9]+}}: error: invalid op_sel value.
v_dot2_i32_i16 v0, v1, v2, v3 op_sel:[-1,-1]
// GFX906-GFX908: :[[@LINE+1]]:{{[0-9]+}}: error: expected a closing square bracket
v_dot2_i32_i16 v0, v1, v2, v3 op_sel:[0,0,0,0,0]
// GFX906-GFX908: :[[@LINE+1]]:{{[0-9]+}}: error: invalid operand for instruction
v_dot2_i32_i16 v0, v1, v2, v3 op_sel_hi
// GFX906-GFX908: :[[@LINE+1]]:{{[0-9]+}}: error: expected a left square bracket
v_dot2_i32_i16 v0, v1, v2, v3 op_sel_hi:
// GFX906-GFX908: :[[@LINE+1]]:{{[0-9]+}}: error: unknown token in expression
v_dot2_i32_i16 v0, v1, v2, v3 op_sel_hi:[
// GFX906-GFX908: :[[@LINE+1]]:{{[0-9]+}}: error: expected a left square bracket
v_dot2_i32_i16 v0, v1, v2, v3 op_sel_hi:]
// GFX906-GFX908: :[[@LINE+1]]:{{[0-9]+}}: error: unknown token in expression
v_dot2_i32_i16 v0, v1, v2, v3 op_sel_hi:[]
// GFX906-GFX908: :[[@LINE+1]]:{{[0-9]+}}: error: unknown token in expression
v_dot2_i32_i16 v0, v1, v2, v3 op_sel_hi:[,]
// GFX906-GFX908: :[[@LINE+1]]:{{[0-9]+}}: error: unknown token in expression
v_dot2_i32_i16 v0, v1, v2, v3 op_sel_hi:[,0]
// GFX906-GFX908: :[[@LINE+1]]:{{[0-9]+}}: error: invalid op_sel_hi value.
v_dot2_i32_i16 v0, v1, v2, v3 op_sel_hi:[0,2]
// GFX906-GFX908: :[[@LINE+1]]:{{[0-9]+}}: error: invalid op_sel_hi value.
v_dot2_i32_i16 v0, v1, v2, v3 op_sel_hi:[2,0]
	;; [unrolled: 2-line block ×3, first 2 shown]
// GFX906-GFX908: :[[@LINE+1]]:{{[0-9]+}}: error: invalid op_sel_hi value.
v_dot2_i32_i16 v0, v1, v2, v3 op_sel_hi:[0,-1]
// GFX906-GFX908: :[[@LINE+1]]:{{[0-9]+}}: error: invalid op_sel_hi value.
v_dot2_i32_i16 v0, v1, v2, v3 op_sel_hi:[-1,0]
// GFX906-GFX908: :[[@LINE+1]]:{{[0-9]+}}: error: invalid op_sel_hi value.
v_dot2_i32_i16 v0, v1, v2, v3 op_sel_hi:[-1,-1]
// GFX906-GFX908: :[[@LINE+1]]:{{[0-9]+}}: error: expected a closing square bracket
v_dot2_i32_i16 v0, v1, v2, v3 op_sel_hi:[0,0,0,0,0]
// FIXME-GFX906: :[[@LINE+1]]:{{[0-9]+}}: error: invalid operand for instruction
v_dot2_i32_i16 v0, v1, v2, v3 neg_lo:[0,0]
// FIXME-GFX906: :[[@LINE+1]]:{{[0-9]+}}: error: invalid operand for instruction
v_dot2_i32_i16 v0, v1, v2, v3 neg_hi:[0,0]
// GFX906-GFX908: :[[@LINE+1]]:{{[0-9]+}}: error: invalid operand for instruction
v_dot2_u32_u16 v0, v1, v2, v3 op_sel
// GFX906-GFX908: :[[@LINE+1]]:{{[0-9]+}}: error: expected a left square bracket
v_dot2_u32_u16 v0, v1, v2, v3 op_sel:
// GFX906-GFX908: :[[@LINE+1]]:{{[0-9]+}}: error: unknown token in expression
v_dot2_u32_u16 v0, v1, v2, v3 op_sel:[
// GFX906-GFX908: :[[@LINE+1]]:{{[0-9]+}}: error: expected a left square bracket
v_dot2_u32_u16 v0, v1, v2, v3 op_sel:]
// GFX906-GFX908: :[[@LINE+1]]:{{[0-9]+}}: error: unknown token in expression
v_dot2_u32_u16 v0, v1, v2, v3 op_sel:[]
// GFX906-GFX908: :[[@LINE+1]]:{{[0-9]+}}: error: unknown token in expression
v_dot2_u32_u16 v0, v1, v2, v3 op_sel:[,]
// GFX906-GFX908: :[[@LINE+1]]:{{[0-9]+}}: error: unknown token in expression
v_dot2_u32_u16 v0, v1, v2, v3 op_sel:[,0]
// GFX906-GFX908: :[[@LINE+1]]:{{[0-9]+}}: error: invalid op_sel value.
v_dot2_u32_u16 v0, v1, v2, v3 op_sel:[0,2]
// GFX906-GFX908: :[[@LINE+1]]:{{[0-9]+}}: error: invalid op_sel value.
v_dot2_u32_u16 v0, v1, v2, v3 op_sel:[2,0]
	;; [unrolled: 2-line block ×3, first 2 shown]
// GFX906-GFX908: :[[@LINE+1]]:{{[0-9]+}}: error: invalid op_sel value.
v_dot2_u32_u16 v0, v1, v2, v3 op_sel:[0,-1]
// GFX906-GFX908: :[[@LINE+1]]:{{[0-9]+}}: error: invalid op_sel value.
v_dot2_u32_u16 v0, v1, v2, v3 op_sel:[-1,0]
// GFX906-GFX908: :[[@LINE+1]]:{{[0-9]+}}: error: invalid op_sel value.
v_dot2_u32_u16 v0, v1, v2, v3 op_sel:[-1,-1]
// GFX906-GFX908: :[[@LINE+1]]:{{[0-9]+}}: error: expected a closing square bracket
v_dot2_u32_u16 v0, v1, v2, v3 op_sel:[0,0,0,0,0]
// GFX906-GFX908: :[[@LINE+1]]:{{[0-9]+}}: error: invalid operand for instruction
v_dot2_u32_u16 v0, v1, v2, v3 op_sel_hi
// GFX906-GFX908: :[[@LINE+1]]:{{[0-9]+}}: error: expected a left square bracket
v_dot2_u32_u16 v0, v1, v2, v3 op_sel_hi:
// GFX906-GFX908: :[[@LINE+1]]:{{[0-9]+}}: error: unknown token in expression
v_dot2_u32_u16 v0, v1, v2, v3 op_sel_hi:[
// GFX906-GFX908: :[[@LINE+1]]:{{[0-9]+}}: error: expected a left square bracket
v_dot2_u32_u16 v0, v1, v2, v3 op_sel_hi:]
// GFX906-GFX908: :[[@LINE+1]]:{{[0-9]+}}: error: unknown token in expression
v_dot2_u32_u16 v0, v1, v2, v3 op_sel_hi:[]
// GFX906-GFX908: :[[@LINE+1]]:{{[0-9]+}}: error: unknown token in expression
v_dot2_u32_u16 v0, v1, v2, v3 op_sel_hi:[,]
// GFX906-GFX908: :[[@LINE+1]]:{{[0-9]+}}: error: unknown token in expression
v_dot2_u32_u16 v0, v1, v2, v3 op_sel_hi:[,0]
// GFX906-GFX908: :[[@LINE+1]]:{{[0-9]+}}: error: invalid op_sel_hi value
v_dot2_u32_u16 v0, v1, v2, v3 op_sel_hi:[0,2]
// GFX906-GFX908: :[[@LINE+1]]:{{[0-9]+}}: error: invalid op_sel_hi value.
v_dot2_u32_u16 v0, v1, v2, v3 op_sel_hi:[2,0]
// GFX906-GFX908: :[[@LINE+1]]:{{[0-9]+}}: error: invalid op_sel_hi value.
	;; [unrolled: 2-line block ×3, first 2 shown]
v_dot2_u32_u16 v0, v1, v2, v3 op_sel_hi:[0,-1]
// GFX906-GFX908: :[[@LINE+1]]:{{[0-9]+}}: error: invalid op_sel_hi value.
v_dot2_u32_u16 v0, v1, v2, v3 op_sel_hi:[-1,0]
// GFX906-GFX908: :[[@LINE+1]]:{{[0-9]+}}: error: invalid op_sel_hi value.
v_dot2_u32_u16 v0, v1, v2, v3 op_sel_hi:[-1,-1]
// GFX906-GFX908: :[[@LINE+1]]:{{[0-9]+}}: error: expected a closing square bracket
v_dot2_u32_u16 v0, v1, v2, v3 op_sel_hi:[0,0,0,0,0]
// FIXME-GFX906: :[[@LINE+1]]:{{[0-9]+}}: error: invalid operand for instruction
v_dot2_u32_u16 v0, v1, v2, v3 neg_lo:[0,0]
// FIXME-GFX906: :[[@LINE+1]]:{{[0-9]+}}: error: invalid operand for instruction
v_dot2_u32_u16 v0, v1, v2, v3 neg_hi:[0,0]

//
// Test regular modifiers.
//

// GFX906-GFX908: :[[@LINE+1]]:{{[0-9]+}}: error: not a valid operand
v_dot2_f32_f16 v0, |v1|, v2, v3
// GFX906-GFX908: :[[@LINE+1]]:{{[0-9]+}}: error: not a valid operand
v_dot2_f32_f16 v0, v1, |v2|, v3
// GFX906-GFX908: :[[@LINE+1]]:{{[0-9]+}}: error: not a valid operand
v_dot2_f32_f16 v0, v1, v2, |v3|
// GFX906-GFX908: :[[@LINE+1]]:{{[0-9]+}}: error: not a valid operand
v_dot2_f32_f16 v0, |v1|, |v2|, v3
// GFX906-GFX908: :[[@LINE+1]]:{{[0-9]+}}: error: not a valid operand
v_dot2_f32_f16 v0, |v1|, v2, |v3|
// GFX906-GFX908: :[[@LINE+1]]:{{[0-9]+}}: error: not a valid operand
v_dot2_f32_f16 v0, |v1|, |v2|, |v3|
// GFX906-GFX908: :[[@LINE+1]]:{{[0-9]+}}: error: not a valid operand
v_dot2_f32_f16 v0, abs(v1), v2, v3
// GFX906-GFX908: :[[@LINE+1]]:{{[0-9]+}}: error: not a valid operand
v_dot2_f32_f16 v0, v1, abs(v2), v3
// GFX906-GFX908: :[[@LINE+1]]:{{[0-9]+}}: error: not a valid operand
v_dot2_f32_f16 v0, v1, v2, abs(v3)
// GFX906-GFX908: :[[@LINE+1]]:{{[0-9]+}}: error: not a valid operand
v_dot2_f32_f16 v0, abs(v1), abs(v2), v3
// GFX906-GFX908: :[[@LINE+1]]:{{[0-9]+}}: error: not a valid operand
v_dot2_f32_f16 v0, abs(v1), v2, abs(v3)
// GFX906-GFX908: :[[@LINE+1]]:{{[0-9]+}}: error: not a valid operand
v_dot2_f32_f16 v0, abs(v1), abs(v2), abs(v3)
// GFX906-GFX908: :[[@LINE+1]]:{{[0-9]+}}: error: not a valid operand
v_dot2_f32_f16 v0, -v1, v2, v3
// GFX906-GFX908: :[[@LINE+1]]:{{[0-9]+}}: error: not a valid operand
v_dot2_f32_f16 v0, v1, -v2, v3
// GFX906-GFX908: :[[@LINE+1]]:{{[0-9]+}}: error: not a valid operand
v_dot2_f32_f16 v0, v1, v2, -v3
// GFX906-GFX908: :[[@LINE+1]]:{{[0-9]+}}: error: not a valid operand
v_dot2_f32_f16 v0, -v1, -v2, v3
// GFX906-GFX908: :[[@LINE+1]]:{{[0-9]+}}: error: not a valid operand
v_dot2_f32_f16 v0, -v1, v2, -v3
// GFX906-GFX908: :[[@LINE+1]]:{{[0-9]+}}: error: not a valid operand
v_dot2_f32_f16 v0, -v1, -v2, -v3
// GFX906-GFX908: :[[@LINE+1]]:{{[0-9]+}}: error: not a valid operand
v_dot2_i32_i16 v0, |v1|, v2, v3
// GFX906-GFX908: :[[@LINE+1]]:{{[0-9]+}}: error: not a valid operand
v_dot2_i32_i16 v0, v1, |v2|, v3
// GFX906-GFX908: :[[@LINE+1]]:{{[0-9]+}}: error: not a valid operand
v_dot2_i32_i16 v0, v1, v2, |v3|
// GFX906-GFX908: :[[@LINE+1]]:{{[0-9]+}}: error: not a valid operand
v_dot2_i32_i16 v0, |v1|, |v2|, v3
// GFX906-GFX908: :[[@LINE+1]]:{{[0-9]+}}: error: not a valid operand
v_dot2_i32_i16 v0, |v1|, v2, |v3|
// GFX906-GFX908: :[[@LINE+1]]:{{[0-9]+}}: error: not a valid operand
v_dot2_i32_i16 v0, |v1|, |v2|, |v3|
// GFX906-GFX908: :[[@LINE+1]]:{{[0-9]+}}: error: not a valid operand
v_dot2_i32_i16 v0, abs(v1), v2, v3
// GFX906-GFX908: :[[@LINE+1]]:{{[0-9]+}}: error: not a valid operand
v_dot2_i32_i16 v0, v1, abs(v2), v3
// GFX906-GFX908: :[[@LINE+1]]:{{[0-9]+}}: error: not a valid operand
v_dot2_i32_i16 v0, v1, v2, abs(v3)
// GFX906-GFX908: :[[@LINE+1]]:{{[0-9]+}}: error: not a valid operand
v_dot2_i32_i16 v0, abs(v1), abs(v2), v3
// GFX906-GFX908: :[[@LINE+1]]:{{[0-9]+}}: error: not a valid operand
v_dot2_i32_i16 v0, abs(v1), v2, abs(v3)
// GFX906-GFX908: :[[@LINE+1]]:{{[0-9]+}}: error: not a valid operand
v_dot2_i32_i16 v0, abs(v1), abs(v2), abs(v3)
// GFX906-GFX908: :[[@LINE+1]]:{{[0-9]+}}: error: not a valid operand
v_dot2_i32_i16 v0, -v1, v2, v3
// GFX906-GFX908: :[[@LINE+1]]:{{[0-9]+}}: error: not a valid operand
v_dot2_i32_i16 v0, v1, -v2, v3
// GFX906-GFX908: :[[@LINE+1]]:{{[0-9]+}}: error: not a valid operand
v_dot2_i32_i16 v0, v1, v2, -v3
// GFX906-GFX908: :[[@LINE+1]]:{{[0-9]+}}: error: not a valid operand
v_dot2_i32_i16 v0, -v1, -v2, v3
// GFX906-GFX908: :[[@LINE+1]]:{{[0-9]+}}: error: not a valid operand
v_dot2_i32_i16 v0, -v1, v2, -v3
// GFX906-GFX908: :[[@LINE+1]]:{{[0-9]+}}: error: not a valid operand
v_dot2_i32_i16 v0, -v1, -v2, -v3
// GFX906-GFX908: :[[@LINE+1]]:{{[0-9]+}}: error: not a valid operand
v_dot2_u32_u16 v0, |v1|, v2, v3
// GFX906-GFX908: :[[@LINE+1]]:{{[0-9]+}}: error: not a valid operand
v_dot2_u32_u16 v0, v1, |v2|, v3
// GFX906-GFX908: :[[@LINE+1]]:{{[0-9]+}}: error: not a valid operand
v_dot2_u32_u16 v0, v1, v2, |v3|
// GFX906-GFX908: :[[@LINE+1]]:{{[0-9]+}}: error: not a valid operand
v_dot2_u32_u16 v0, |v1|, |v2|, v3
// GFX906-GFX908: :[[@LINE+1]]:{{[0-9]+}}: error: not a valid operand
v_dot2_u32_u16 v0, |v1|, v2, |v3|
// GFX906-GFX908: :[[@LINE+1]]:{{[0-9]+}}: error: not a valid operand
v_dot2_u32_u16 v0, |v1|, |v2|, |v3|
// GFX906-GFX908: :[[@LINE+1]]:{{[0-9]+}}: error: not a valid operand
v_dot2_u32_u16 v0, abs(v1), v2, v3
// GFX906-GFX908: :[[@LINE+1]]:{{[0-9]+}}: error: not a valid operand
v_dot2_u32_u16 v0, v1, abs(v2), v3
// GFX906-GFX908: :[[@LINE+1]]:{{[0-9]+}}: error: not a valid operand
v_dot2_u32_u16 v0, v1, v2, abs(v3)
// GFX906-GFX908: :[[@LINE+1]]:{{[0-9]+}}: error: not a valid operand
v_dot2_u32_u16 v0, abs(v1), abs(v2), v3
// GFX906-GFX908: :[[@LINE+1]]:{{[0-9]+}}: error: not a valid operand
v_dot2_u32_u16 v0, abs(v1), v2, abs(v3)
// GFX906-GFX908: :[[@LINE+1]]:{{[0-9]+}}: error: not a valid operand
v_dot2_u32_u16 v0, abs(v1), abs(v2), abs(v3)
// GFX906-GFX908: :[[@LINE+1]]:{{[0-9]+}}: error: not a valid operand
v_dot2_u32_u16 v0, -v1, v2, v3
// GFX906-GFX908: :[[@LINE+1]]:{{[0-9]+}}: error: not a valid operand
v_dot2_u32_u16 v0, v1, -v2, v3
// GFX906-GFX908: :[[@LINE+1]]:{{[0-9]+}}: error: not a valid operand
v_dot2_u32_u16 v0, v1, v2, -v3
// GFX906-GFX908: :[[@LINE+1]]:{{[0-9]+}}: error: not a valid operand
v_dot2_u32_u16 v0, -v1, -v2, v3
// GFX906-GFX908: :[[@LINE+1]]:{{[0-9]+}}: error: not a valid operand
v_dot2_u32_u16 v0, -v1, v2, -v3
// GFX906-GFX908: :[[@LINE+1]]:{{[0-9]+}}: error: not a valid operand
v_dot2_u32_u16 v0, -v1, -v2, -v3

//
// Test constant bus restrictions.
//

// GFX906-GFX908: :[[@LINE+1]]:{{[0-9]+}}: error: invalid operand (violates constant bus restrictions)
v_dot2_f32_f16 v255, s1, s2, s3
// GFX906-GFX908: :[[@LINE+1]]:{{[0-9]+}}: error: invalid operand (violates constant bus restrictions)
v_dot2_i32_i16 v255, s1, s2, s3
// GFX906-GFX908: :[[@LINE+1]]:{{[0-9]+}}: error: invalid operand (violates constant bus restrictions)
v_dot2_u32_u16 v255, s1, s2, s3
